;; amdgpu-corpus repo=FlagOpen/FlagGems kind=triton arch=gfx950 opt=O3 lang=triton
	.amdgcn_target "amdgcn-amd-amdhsa--gfx950"
	.amdhsa_code_object_version 5
	.text
	.globl	diag_1d_to_2d_kernel            ; -- Begin function diag_1d_to_2d_kernel
	.p2align	8
	.type	diag_1d_to_2d_kernel,@function
diag_1d_to_2d_kernel:                   ; @diag_1d_to_2d_kernel
.Lfunc_begin0:
	.cfi_sections .debug_frame
	.cfi_startproc
; %bb.17:
	.file	1 "/root/src/amdgpu-assembly/repos/FlagOpen__FlagGems/triton_aot_kernels" "diag_aot.py"
	.loc	1 8 0 prologue_end              ; diag_aot.py:8:0
	s_load_dwordx2 s[2:3], s[0:1], 0x0
	s_load_dwordx8 s[4:11], s[0:1], 0x8
	s_load_dwordx2 s[12:13], s[0:1], 0x28
	s_waitcnt lgkmcnt(0)
	s_branch .LBB0_0
	.loc	1 0 0 is_stmt 0                 ; :0:0
.Ltmp0:
	.p2align	8
; %bb.18:
.LBB0_0:
.Ltmp1:
	.loc	1 11 55 is_stmt 1               ; diag_aot.py:11:55
	v_readfirstlane_b32 s0, v0
	.loc	1 25 38                         ; diag_aot.py:25:38
	s_and_b32 s0, s0, 0xc0
	v_mov_b32_e32 v4, 0
	.loc	1 11 55                         ; diag_aot.py:11:55
	v_and_or_b32 v0, v0, 63, s0
	.loc	1 11 42 is_stmt 0               ; diag_aot.py:11:42
	v_lshl_or_b32 v0, s14, 10, v0
	.loc	1 22 61 is_stmt 1               ; diag_aot.py:22:61
	v_cmp_gt_i32_e32 vcc, s6, v0
	v_mov_b32_e32 v6, 0
	.loc	1 22 25 is_stmt 0               ; diag_aot.py:22:25
	s_and_saveexec_b64 s[0:1], vcc
	s_cbranch_execz .LBB0_2
; %bb.1:
	.loc	1 0 25                          ; diag_aot.py:0:25
	v_mul_lo_u32 v2, v0, s8
	v_ashrrev_i32_e32 v3, 31, v2
	v_lshl_add_u64 v[2:3], v[2:3], 2, s[2:3]
	.loc	1 22 25                         ; diag_aot.py:22:25
	global_load_dword v6, v[2:3], off
.LBB0_2:
	.loc	1 0 25                          ; diag_aot.py:0:25
	s_or_b64 exec, exec, s[0:1]
	.loc	1 11 42 is_stmt 1               ; diag_aot.py:11:42
	v_or_b32_e32 v1, 0x100, v0
	.loc	1 22 61                         ; diag_aot.py:22:61
	v_cmp_gt_i32_e32 vcc, s6, v1
	.loc	1 22 25 is_stmt 0               ; diag_aot.py:22:25
	s_and_saveexec_b64 s[0:1], vcc
	s_cbranch_execz .LBB0_4
; %bb.3:
	.loc	1 22 42                         ; diag_aot.py:22:42
	v_mul_lo_u32 v2, v1, s8
	.loc	1 22 36                         ; diag_aot.py:22:36
	v_ashrrev_i32_e32 v3, 31, v2
	v_lshl_add_u64 v[2:3], v[2:3], 2, s[2:3]
	.loc	1 22 25                         ; diag_aot.py:22:25
	global_load_dword v4, v[2:3], off
.LBB0_4:
	.loc	1 0 25                          ; diag_aot.py:0:25
	s_or_b64 exec, exec, s[0:1]
	.loc	1 11 42 is_stmt 1               ; diag_aot.py:11:42
	v_or_b32_e32 v2, 0x200, v0
	.loc	1 22 61                         ; diag_aot.py:22:61
	v_cmp_gt_i32_e32 vcc, s6, v2
	v_mov_b32_e32 v5, 0
	v_mov_b32_e32 v7, 0
	.loc	1 22 25 is_stmt 0               ; diag_aot.py:22:25
	s_and_saveexec_b64 s[0:1], vcc
	s_cbranch_execz .LBB0_6
; %bb.5:
	.loc	1 22 42                         ; diag_aot.py:22:42
	v_mul_lo_u32 v8, v2, s8
	.loc	1 22 36                         ; diag_aot.py:22:36
	v_ashrrev_i32_e32 v9, 31, v8
	v_lshl_add_u64 v[8:9], v[8:9], 2, s[2:3]
	.loc	1 22 25                         ; diag_aot.py:22:25
	global_load_dword v7, v[8:9], off
.LBB0_6:
	.loc	1 0 25                          ; diag_aot.py:0:25
	s_or_b64 exec, exec, s[0:1]
	.loc	1 11 42 is_stmt 1               ; diag_aot.py:11:42
	v_or_b32_e32 v3, 0x300, v0
	.loc	1 22 61                         ; diag_aot.py:22:61
	v_cmp_gt_i32_e32 vcc, s6, v3
	.loc	1 22 25 is_stmt 0               ; diag_aot.py:22:25
	s_and_saveexec_b64 s[0:1], vcc
	s_cbranch_execz .LBB0_8
; %bb.7:
	.loc	1 22 42                         ; diag_aot.py:22:42
	v_mul_lo_u32 v8, v3, s8
	.loc	1 22 36                         ; diag_aot.py:22:36
	v_ashrrev_i32_e32 v9, 31, v8
	v_lshl_add_u64 v[8:9], v[8:9], 2, s[2:3]
	.loc	1 22 25                         ; diag_aot.py:22:25
	global_load_dword v5, v[8:9], off
.LBB0_8:
	.loc	1 0 25                          ; diag_aot.py:0:25
	s_or_b64 exec, exec, s[0:1]
	.loc	1 20 22 is_stmt 1               ; diag_aot.py:20:22
	v_cmp_gt_i32_e32 vcc, s7, v0
	.loc	1 24 31                         ; diag_aot.py:24:31
	s_add_i32 s2, s7, 1
	.loc	1 25 38                         ; diag_aot.py:25:38
	s_and_saveexec_b64 s[0:1], vcc
	s_cbranch_execnz .LBB0_13
; %bb.9:
	.loc	1 0 38 is_stmt 0                ; diag_aot.py:0:38
	s_or_b64 exec, exec, s[0:1]
	.loc	1 20 22 is_stmt 1               ; diag_aot.py:20:22
	v_cmp_gt_i32_e32 vcc, s7, v1
	.loc	1 25 38                         ; diag_aot.py:25:38
	s_and_saveexec_b64 s[0:1], vcc
	s_cbranch_execnz .LBB0_14
.LBB0_10:
	.loc	1 0 38 is_stmt 0                ; diag_aot.py:0:38
	s_or_b64 exec, exec, s[0:1]
	.loc	1 20 22 is_stmt 1               ; diag_aot.py:20:22
	v_cmp_gt_i32_e32 vcc, s7, v2
	.loc	1 25 38                         ; diag_aot.py:25:38
	s_and_saveexec_b64 s[0:1], vcc
	s_cbranch_execnz .LBB0_15
.LBB0_11:
	.loc	1 0 38 is_stmt 0                ; diag_aot.py:0:38
	s_or_b64 exec, exec, s[0:1]
	.loc	1 20 22 is_stmt 1               ; diag_aot.py:20:22
	v_cmp_gt_i32_e32 vcc, s7, v3
	.loc	1 25 38                         ; diag_aot.py:25:38
	s_and_saveexec_b64 s[0:1], vcc
	s_cbranch_execnz .LBB0_16
.LBB0_12:
	.loc	1 25 4 is_stmt 0                ; diag_aot.py:25:4
	s_endpgm
.LBB0_13:
	.loc	1 0 4                           ; diag_aot.py:0:4
	v_mul_lo_u32 v8, v0, s2
	v_ashrrev_i32_e32 v9, 31, v8
	v_lshl_add_u64 v[8:9], v[8:9], 2, s[4:5]
	.loc	1 25 38                         ; diag_aot.py:25:38
	s_waitcnt vmcnt(0)
	global_store_dword v[8:9], v6, off
	s_or_b64 exec, exec, s[0:1]
	.loc	1 20 22 is_stmt 1               ; diag_aot.py:20:22
	v_cmp_gt_i32_e32 vcc, s7, v1
	.loc	1 25 38                         ; diag_aot.py:25:38
	s_and_saveexec_b64 s[0:1], vcc
	s_cbranch_execz .LBB0_10
.LBB0_14:
	.loc	1 24 31                         ; diag_aot.py:24:31
	v_mul_lo_u32 v0, v1, s2
	.loc	1 25 26                         ; diag_aot.py:25:26
	v_ashrrev_i32_e32 v1, 31, v0
	v_lshl_add_u64 v[0:1], v[0:1], 2, s[4:5]
	.loc	1 25 38 is_stmt 0               ; diag_aot.py:25:38
	s_waitcnt vmcnt(0)
	global_store_dword v[0:1], v4, off
	s_or_b64 exec, exec, s[0:1]
	.loc	1 20 22 is_stmt 1               ; diag_aot.py:20:22
	v_cmp_gt_i32_e32 vcc, s7, v2
	.loc	1 25 38                         ; diag_aot.py:25:38
	s_and_saveexec_b64 s[0:1], vcc
	s_cbranch_execz .LBB0_11
.LBB0_15:
	.loc	1 24 31                         ; diag_aot.py:24:31
	v_mul_lo_u32 v0, v2, s2
	.loc	1 25 26                         ; diag_aot.py:25:26
	v_ashrrev_i32_e32 v1, 31, v0
	v_lshl_add_u64 v[0:1], v[0:1], 2, s[4:5]
	.loc	1 25 38 is_stmt 0               ; diag_aot.py:25:38
	s_waitcnt vmcnt(0)
	global_store_dword v[0:1], v7, off
	s_or_b64 exec, exec, s[0:1]
	.loc	1 20 22 is_stmt 1               ; diag_aot.py:20:22
	v_cmp_gt_i32_e32 vcc, s7, v3
	.loc	1 25 38                         ; diag_aot.py:25:38
	s_and_saveexec_b64 s[0:1], vcc
	s_cbranch_execz .LBB0_12
.LBB0_16:
	.loc	1 24 31                         ; diag_aot.py:24:31
	v_mul_lo_u32 v0, v3, s2
	.loc	1 25 26                         ; diag_aot.py:25:26
	v_ashrrev_i32_e32 v1, 31, v0
	v_lshl_add_u64 v[0:1], v[0:1], 2, s[4:5]
	.loc	1 25 38 is_stmt 0               ; diag_aot.py:25:38
	s_waitcnt vmcnt(0)
	global_store_dword v[0:1], v5, off
	.loc	1 25 4                          ; diag_aot.py:25:4
	s_endpgm
.Ltmp2:
	.section	.rodata,"a",@progbits
	.p2align	6, 0x0
	.amdhsa_kernel diag_1d_to_2d_kernel
		.amdhsa_group_segment_fixed_size 0
		.amdhsa_private_segment_fixed_size 0
		.amdhsa_kernarg_size 48
		.amdhsa_user_sgpr_count 14
		.amdhsa_user_sgpr_dispatch_ptr 0
		.amdhsa_user_sgpr_queue_ptr 0
		.amdhsa_user_sgpr_kernarg_segment_ptr 1
		.amdhsa_user_sgpr_dispatch_id 0
		.amdhsa_user_sgpr_kernarg_preload_length 12
		.amdhsa_user_sgpr_kernarg_preload_offset 0
		.amdhsa_user_sgpr_private_segment_size 0
		.amdhsa_uses_dynamic_stack 0
		.amdhsa_enable_private_segment 0
		.amdhsa_system_sgpr_workgroup_id_x 1
		.amdhsa_system_sgpr_workgroup_id_y 0
		.amdhsa_system_sgpr_workgroup_id_z 0
		.amdhsa_system_sgpr_workgroup_info 0
		.amdhsa_system_vgpr_workitem_id 0
		.amdhsa_next_free_vgpr 10
		.amdhsa_next_free_sgpr 15
		.amdhsa_accum_offset 12
		.amdhsa_reserve_vcc 1
		.amdhsa_reserve_xnack_mask 1
		.amdhsa_float_round_mode_32 0
		.amdhsa_float_round_mode_16_64 0
		.amdhsa_float_denorm_mode_32 3
		.amdhsa_float_denorm_mode_16_64 3
		.amdhsa_dx10_clamp 1
		.amdhsa_ieee_mode 1
		.amdhsa_fp16_overflow 0
		.amdhsa_tg_split 0
		.amdhsa_exception_fp_ieee_invalid_op 0
		.amdhsa_exception_fp_denorm_src 0
		.amdhsa_exception_fp_ieee_div_zero 0
		.amdhsa_exception_fp_ieee_overflow 0
		.amdhsa_exception_fp_ieee_underflow 0
		.amdhsa_exception_fp_ieee_inexact 0
		.amdhsa_exception_int_div_zero 0
	.end_amdhsa_kernel
	.text
.Lfunc_end0:
	.size	diag_1d_to_2d_kernel, .Lfunc_end0-diag_1d_to_2d_kernel
	.cfi_endproc
                                        ; -- End function
	.set diag_1d_to_2d_kernel.num_vgpr, 10
	.set diag_1d_to_2d_kernel.num_agpr, 0
	.set diag_1d_to_2d_kernel.numbered_sgpr, 15
	.set diag_1d_to_2d_kernel.num_named_barrier, 0
	.set diag_1d_to_2d_kernel.private_seg_size, 0
	.set diag_1d_to_2d_kernel.uses_vcc, 1
	.set diag_1d_to_2d_kernel.uses_flat_scratch, 0
	.set diag_1d_to_2d_kernel.has_dyn_sized_stack, 0
	.set diag_1d_to_2d_kernel.has_recursion, 0
	.set diag_1d_to_2d_kernel.has_indirect_call, 0
	.section	.AMDGPU.csdata,"",@progbits
; Kernel info:
; codeLenInByte = 748
; TotalNumSgprs: 21
; NumVgprs: 10
; NumAgprs: 0
; TotalNumVgprs: 10
; ScratchSize: 0
; MemoryBound: 0
; FloatMode: 240
; IeeeMode: 1
; LDSByteSize: 0 bytes/workgroup (compile time only)
; SGPRBlocks: 2
; VGPRBlocks: 1
; NumSGPRsForWavesPerEU: 21
; NumVGPRsForWavesPerEU: 10
; AccumOffset: 12
; Occupancy: 8
; WaveLimiterHint : 0
; COMPUTE_PGM_RSRC2:SCRATCH_EN: 0
; COMPUTE_PGM_RSRC2:USER_SGPR: 14
; COMPUTE_PGM_RSRC2:TRAP_HANDLER: 0
; COMPUTE_PGM_RSRC2:TGID_X_EN: 1
; COMPUTE_PGM_RSRC2:TGID_Y_EN: 0
; COMPUTE_PGM_RSRC2:TGID_Z_EN: 0
; COMPUTE_PGM_RSRC2:TIDIG_COMP_CNT: 0
; COMPUTE_PGM_RSRC3_GFX90A:ACCUM_OFFSET: 2
; COMPUTE_PGM_RSRC3_GFX90A:TG_SPLIT: 0
	.text
	.p2alignl 6, 3212836864
	.fill 256, 4, 3212836864
	.section	.AMDGPU.gpr_maximums,"",@progbits
	.set amdgpu.max_num_vgpr, 0
	.set amdgpu.max_num_agpr, 0
	.set amdgpu.max_num_sgpr, 0
	.set amdgpu.max_num_named_barrier, 0
	.text
	.section	.debug_abbrev,"",@progbits
	.byte	1                               ; Abbreviation Code
	.byte	17                              ; DW_TAG_compile_unit
	.byte	0                               ; DW_CHILDREN_no
	.byte	37                              ; DW_AT_producer
	.byte	14                              ; DW_FORM_strp
	.byte	19                              ; DW_AT_language
	.byte	5                               ; DW_FORM_data2
	.byte	3                               ; DW_AT_name
	.byte	14                              ; DW_FORM_strp
	.byte	16                              ; DW_AT_stmt_list
	.byte	23                              ; DW_FORM_sec_offset
	.byte	27                              ; DW_AT_comp_dir
	.byte	14                              ; DW_FORM_strp
	.byte	17                              ; DW_AT_low_pc
	.byte	1                               ; DW_FORM_addr
	.byte	18                              ; DW_AT_high_pc
	.byte	6                               ; DW_FORM_data4
	.byte	0                               ; EOM(1)
	.byte	0                               ; EOM(2)
	;; [unrolled: 1-line block ×3, first 2 shown]
	.section	.debug_info,"",@progbits
.Lcu_begin0:
	.long	.Ldebug_info_end0-.Ldebug_info_start0 ; Length of Unit
.Ldebug_info_start0:
	.short	4                               ; DWARF version number
	.long	.debug_abbrev                   ; Offset Into Abbrev. Section
	.byte	8                               ; Address Size (in bytes)
	.byte	1                               ; Abbrev [1] 0xb:0x1f DW_TAG_compile_unit
	.long	.Linfo_string0                  ; DW_AT_producer
	.short	2                               ; DW_AT_language
	.long	.Linfo_string1                  ; DW_AT_name
	.long	.Lline_table_start0             ; DW_AT_stmt_list
	.long	.Linfo_string2                  ; DW_AT_comp_dir
	.quad	.Lfunc_begin0                   ; DW_AT_low_pc
	.long	.Lfunc_end0-.Lfunc_begin0       ; DW_AT_high_pc
.Ldebug_info_end0:
	.section	.debug_str,"MS",@progbits,1
.Linfo_string0:
	.asciz	"triton"                        ; string offset=0
.Linfo_string1:
	.asciz	"diag_aot.py"                   ; string offset=7
.Linfo_string2:
	.asciz	"/root/src/amdgpu-assembly/repos/FlagOpen__FlagGems/triton_aot_kernels" ; string offset=19
	.section	".note.GNU-stack","",@progbits
	.amdgpu_metadata
---
amdhsa.kernels:
  - .agpr_count:     0
    .args:
      - .address_space:  global
        .offset:         0
        .size:           8
        .value_kind:     global_buffer
      - .address_space:  global
        .offset:         8
        .size:           8
        .value_kind:     global_buffer
      - .offset:         16
        .size:           4
        .value_kind:     by_value
      - .offset:         20
        .size:           4
        .value_kind:     by_value
      - .offset:         24
        .size:           4
        .value_kind:     by_value
      - .address_space:  global
        .offset:         32
        .size:           8
        .value_kind:     global_buffer
      - .address_space:  global
        .offset:         40
        .size:           8
        .value_kind:     global_buffer
    .group_segment_fixed_size: 0
    .kernarg_segment_align: 8
    .kernarg_segment_size: 48
    .max_flat_workgroup_size: 256
    .name:           diag_1d_to_2d_kernel
    .private_segment_fixed_size: 0
    .sgpr_count:     21
    .sgpr_spill_count: 0
    .symbol:         diag_1d_to_2d_kernel.kd
    .uniform_work_group_size: 1
    .uses_dynamic_stack: false
    .vgpr_count:     10
    .vgpr_spill_count: 0
    .wavefront_size: 64
amdhsa.target:   amdgcn-amd-amdhsa--gfx950
amdhsa.version:
  - 1
  - 2
...

	.end_amdgpu_metadata
	.section	.debug_line,"",@progbits
.Lline_table_start0:
